;; amdgpu-corpus repo=ROCm/rocFFT kind=compiled arch=gfx1030 opt=O3
	.text
	.amdgcn_target "amdgcn-amd-amdhsa--gfx1030"
	.amdhsa_code_object_version 6
	.protected	fft_rtc_fwd_len1728_factors_3_6_6_16_wgs_108_tpt_108_halfLds_sp_op_CI_CI_unitstride_sbrr_C2R_dirReg ; -- Begin function fft_rtc_fwd_len1728_factors_3_6_6_16_wgs_108_tpt_108_halfLds_sp_op_CI_CI_unitstride_sbrr_C2R_dirReg
	.globl	fft_rtc_fwd_len1728_factors_3_6_6_16_wgs_108_tpt_108_halfLds_sp_op_CI_CI_unitstride_sbrr_C2R_dirReg
	.p2align	8
	.type	fft_rtc_fwd_len1728_factors_3_6_6_16_wgs_108_tpt_108_halfLds_sp_op_CI_CI_unitstride_sbrr_C2R_dirReg,@function
fft_rtc_fwd_len1728_factors_3_6_6_16_wgs_108_tpt_108_halfLds_sp_op_CI_CI_unitstride_sbrr_C2R_dirReg: ; @fft_rtc_fwd_len1728_factors_3_6_6_16_wgs_108_tpt_108_halfLds_sp_op_CI_CI_unitstride_sbrr_C2R_dirReg
; %bb.0:
	s_clause 0x2
	s_load_dwordx4 s[12:15], s[4:5], 0x0
	s_load_dwordx4 s[8:11], s[4:5], 0x58
	;; [unrolled: 1-line block ×3, first 2 shown]
	v_mul_u32_u24_e32 v1, 0x25f, v0
	v_mov_b32_e32 v3, 0
	v_add_nc_u32_sdwa v5, s6, v1 dst_sel:DWORD dst_unused:UNUSED_PAD src0_sel:DWORD src1_sel:WORD_1
	v_mov_b32_e32 v1, 0
	v_mov_b32_e32 v6, v3
	v_mov_b32_e32 v2, 0
	s_waitcnt lgkmcnt(0)
	v_cmp_lt_u64_e64 s0, s[14:15], 2
	s_and_b32 vcc_lo, exec_lo, s0
	s_cbranch_vccnz .LBB0_8
; %bb.1:
	s_load_dwordx2 s[0:1], s[4:5], 0x10
	v_mov_b32_e32 v1, 0
	v_mov_b32_e32 v2, 0
	s_add_u32 s2, s18, 8
	s_addc_u32 s3, s19, 0
	s_add_u32 s6, s16, 8
	s_addc_u32 s7, s17, 0
	v_mov_b32_e32 v27, v2
	v_mov_b32_e32 v26, v1
	s_mov_b64 s[22:23], 1
	s_waitcnt lgkmcnt(0)
	s_add_u32 s20, s0, 8
	s_addc_u32 s21, s1, 0
.LBB0_2:                                ; =>This Inner Loop Header: Depth=1
	s_load_dwordx2 s[24:25], s[20:21], 0x0
                                        ; implicit-def: $vgpr30_vgpr31
	s_mov_b32 s0, exec_lo
	s_waitcnt lgkmcnt(0)
	v_or_b32_e32 v4, s25, v6
	v_cmpx_ne_u64_e32 0, v[3:4]
	s_xor_b32 s1, exec_lo, s0
	s_cbranch_execz .LBB0_4
; %bb.3:                                ;   in Loop: Header=BB0_2 Depth=1
	v_cvt_f32_u32_e32 v4, s24
	v_cvt_f32_u32_e32 v7, s25
	s_sub_u32 s0, 0, s24
	s_subb_u32 s26, 0, s25
	v_fmac_f32_e32 v4, 0x4f800000, v7
	v_rcp_f32_e32 v4, v4
	v_mul_f32_e32 v4, 0x5f7ffffc, v4
	v_mul_f32_e32 v7, 0x2f800000, v4
	v_trunc_f32_e32 v7, v7
	v_fmac_f32_e32 v4, 0xcf800000, v7
	v_cvt_u32_f32_e32 v7, v7
	v_cvt_u32_f32_e32 v4, v4
	v_mul_lo_u32 v8, s0, v7
	v_mul_hi_u32 v9, s0, v4
	v_mul_lo_u32 v10, s26, v4
	v_add_nc_u32_e32 v8, v9, v8
	v_mul_lo_u32 v9, s0, v4
	v_add_nc_u32_e32 v8, v8, v10
	v_mul_hi_u32 v10, v4, v9
	v_mul_lo_u32 v11, v4, v8
	v_mul_hi_u32 v12, v4, v8
	v_mul_hi_u32 v13, v7, v9
	v_mul_lo_u32 v9, v7, v9
	v_mul_hi_u32 v14, v7, v8
	v_mul_lo_u32 v8, v7, v8
	v_add_co_u32 v10, vcc_lo, v10, v11
	v_add_co_ci_u32_e32 v11, vcc_lo, 0, v12, vcc_lo
	v_add_co_u32 v9, vcc_lo, v10, v9
	v_add_co_ci_u32_e32 v9, vcc_lo, v11, v13, vcc_lo
	v_add_co_ci_u32_e32 v10, vcc_lo, 0, v14, vcc_lo
	v_add_co_u32 v8, vcc_lo, v9, v8
	v_add_co_ci_u32_e32 v9, vcc_lo, 0, v10, vcc_lo
	v_add_co_u32 v4, vcc_lo, v4, v8
	v_add_co_ci_u32_e32 v7, vcc_lo, v7, v9, vcc_lo
	v_mul_hi_u32 v8, s0, v4
	v_mul_lo_u32 v10, s26, v4
	v_mul_lo_u32 v9, s0, v7
	v_add_nc_u32_e32 v8, v8, v9
	v_mul_lo_u32 v9, s0, v4
	v_add_nc_u32_e32 v8, v8, v10
	v_mul_hi_u32 v10, v4, v9
	v_mul_lo_u32 v11, v4, v8
	v_mul_hi_u32 v12, v4, v8
	v_mul_hi_u32 v13, v7, v9
	v_mul_lo_u32 v9, v7, v9
	v_mul_hi_u32 v14, v7, v8
	v_mul_lo_u32 v8, v7, v8
	v_add_co_u32 v10, vcc_lo, v10, v11
	v_add_co_ci_u32_e32 v11, vcc_lo, 0, v12, vcc_lo
	v_add_co_u32 v9, vcc_lo, v10, v9
	v_add_co_ci_u32_e32 v9, vcc_lo, v11, v13, vcc_lo
	v_add_co_ci_u32_e32 v10, vcc_lo, 0, v14, vcc_lo
	v_add_co_u32 v8, vcc_lo, v9, v8
	v_add_co_ci_u32_e32 v9, vcc_lo, 0, v10, vcc_lo
	v_add_co_u32 v4, vcc_lo, v4, v8
	v_add_co_ci_u32_e32 v11, vcc_lo, v7, v9, vcc_lo
	v_mul_hi_u32 v13, v5, v4
	v_mad_u64_u32 v[9:10], null, v6, v4, 0
	v_mad_u64_u32 v[7:8], null, v5, v11, 0
	;; [unrolled: 1-line block ×3, first 2 shown]
	v_add_co_u32 v4, vcc_lo, v13, v7
	v_add_co_ci_u32_e32 v7, vcc_lo, 0, v8, vcc_lo
	v_add_co_u32 v4, vcc_lo, v4, v9
	v_add_co_ci_u32_e32 v4, vcc_lo, v7, v10, vcc_lo
	v_add_co_ci_u32_e32 v7, vcc_lo, 0, v12, vcc_lo
	v_add_co_u32 v4, vcc_lo, v4, v11
	v_add_co_ci_u32_e32 v9, vcc_lo, 0, v7, vcc_lo
	v_mul_lo_u32 v10, s25, v4
	v_mad_u64_u32 v[7:8], null, s24, v4, 0
	v_mul_lo_u32 v11, s24, v9
	v_sub_co_u32 v7, vcc_lo, v5, v7
	v_add3_u32 v8, v8, v11, v10
	v_sub_nc_u32_e32 v10, v6, v8
	v_subrev_co_ci_u32_e64 v10, s0, s25, v10, vcc_lo
	v_add_co_u32 v11, s0, v4, 2
	v_add_co_ci_u32_e64 v12, s0, 0, v9, s0
	v_sub_co_u32 v13, s0, v7, s24
	v_sub_co_ci_u32_e32 v8, vcc_lo, v6, v8, vcc_lo
	v_subrev_co_ci_u32_e64 v10, s0, 0, v10, s0
	v_cmp_le_u32_e32 vcc_lo, s24, v13
	v_cmp_eq_u32_e64 s0, s25, v8
	v_cndmask_b32_e64 v13, 0, -1, vcc_lo
	v_cmp_le_u32_e32 vcc_lo, s25, v10
	v_cndmask_b32_e64 v14, 0, -1, vcc_lo
	v_cmp_le_u32_e32 vcc_lo, s24, v7
	;; [unrolled: 2-line block ×3, first 2 shown]
	v_cndmask_b32_e64 v15, 0, -1, vcc_lo
	v_cmp_eq_u32_e32 vcc_lo, s25, v10
	v_cndmask_b32_e64 v7, v15, v7, s0
	v_cndmask_b32_e32 v10, v14, v13, vcc_lo
	v_add_co_u32 v13, vcc_lo, v4, 1
	v_add_co_ci_u32_e32 v14, vcc_lo, 0, v9, vcc_lo
	v_cmp_ne_u32_e32 vcc_lo, 0, v10
	v_cndmask_b32_e32 v8, v14, v12, vcc_lo
	v_cndmask_b32_e32 v10, v13, v11, vcc_lo
	v_cmp_ne_u32_e32 vcc_lo, 0, v7
	v_cndmask_b32_e32 v31, v9, v8, vcc_lo
	v_cndmask_b32_e32 v30, v4, v10, vcc_lo
.LBB0_4:                                ;   in Loop: Header=BB0_2 Depth=1
	s_andn2_saveexec_b32 s0, s1
	s_cbranch_execz .LBB0_6
; %bb.5:                                ;   in Loop: Header=BB0_2 Depth=1
	v_cvt_f32_u32_e32 v4, s24
	s_sub_i32 s1, 0, s24
	v_mov_b32_e32 v31, v3
	v_rcp_iflag_f32_e32 v4, v4
	v_mul_f32_e32 v4, 0x4f7ffffe, v4
	v_cvt_u32_f32_e32 v4, v4
	v_mul_lo_u32 v7, s1, v4
	v_mul_hi_u32 v7, v4, v7
	v_add_nc_u32_e32 v4, v4, v7
	v_mul_hi_u32 v4, v5, v4
	v_mul_lo_u32 v7, v4, s24
	v_add_nc_u32_e32 v8, 1, v4
	v_sub_nc_u32_e32 v7, v5, v7
	v_subrev_nc_u32_e32 v9, s24, v7
	v_cmp_le_u32_e32 vcc_lo, s24, v7
	v_cndmask_b32_e32 v7, v7, v9, vcc_lo
	v_cndmask_b32_e32 v4, v4, v8, vcc_lo
	v_cmp_le_u32_e32 vcc_lo, s24, v7
	v_add_nc_u32_e32 v8, 1, v4
	v_cndmask_b32_e32 v30, v4, v8, vcc_lo
.LBB0_6:                                ;   in Loop: Header=BB0_2 Depth=1
	s_or_b32 exec_lo, exec_lo, s0
	v_mul_lo_u32 v4, v31, s24
	v_mul_lo_u32 v9, v30, s25
	s_load_dwordx2 s[0:1], s[6:7], 0x0
	v_mad_u64_u32 v[7:8], null, v30, s24, 0
	s_load_dwordx2 s[24:25], s[2:3], 0x0
	s_add_u32 s22, s22, 1
	s_addc_u32 s23, s23, 0
	s_add_u32 s2, s2, 8
	s_addc_u32 s3, s3, 0
	s_add_u32 s6, s6, 8
	v_add3_u32 v4, v8, v9, v4
	v_sub_co_u32 v5, vcc_lo, v5, v7
	s_addc_u32 s7, s7, 0
	s_add_u32 s20, s20, 8
	v_sub_co_ci_u32_e32 v4, vcc_lo, v6, v4, vcc_lo
	s_addc_u32 s21, s21, 0
	s_waitcnt lgkmcnt(0)
	v_mul_lo_u32 v6, s0, v4
	v_mul_lo_u32 v7, s1, v5
	v_mad_u64_u32 v[1:2], null, s0, v5, v[1:2]
	v_mul_lo_u32 v4, s24, v4
	v_mul_lo_u32 v8, s25, v5
	v_mad_u64_u32 v[26:27], null, s24, v5, v[26:27]
	v_cmp_ge_u64_e64 s0, s[22:23], s[14:15]
	v_add3_u32 v2, v7, v2, v6
	v_add3_u32 v27, v8, v27, v4
	s_and_b32 vcc_lo, exec_lo, s0
	s_cbranch_vccnz .LBB0_9
; %bb.7:                                ;   in Loop: Header=BB0_2 Depth=1
	v_mov_b32_e32 v5, v30
	v_mov_b32_e32 v6, v31
	s_branch .LBB0_2
.LBB0_8:
	v_mov_b32_e32 v27, v2
	v_mov_b32_e32 v31, v6
	;; [unrolled: 1-line block ×4, first 2 shown]
.LBB0_9:
	s_load_dwordx2 s[0:1], s[4:5], 0x28
	v_mul_hi_u32 v3, 0x25ed098, v0
	s_lshl_b64 s[4:5], s[14:15], 3
                                        ; implicit-def: $vgpr28
	s_add_u32 s2, s18, s4
	s_addc_u32 s3, s19, s5
	s_waitcnt lgkmcnt(0)
	v_cmp_gt_u64_e32 vcc_lo, s[0:1], v[30:31]
	v_cmp_le_u64_e64 s0, s[0:1], v[30:31]
	s_and_saveexec_b32 s1, s0
	s_xor_b32 s0, exec_lo, s1
; %bb.10:
	v_mul_u32_u24_e32 v1, 0x6c, v3
                                        ; implicit-def: $vgpr3
	v_sub_nc_u32_e32 v28, v0, v1
                                        ; implicit-def: $vgpr0
                                        ; implicit-def: $vgpr1_vgpr2
; %bb.11:
	s_or_saveexec_b32 s1, s0
	s_load_dwordx2 s[2:3], s[2:3], 0x0
	s_xor_b32 exec_lo, exec_lo, s1
	s_cbranch_execz .LBB0_15
; %bb.12:
	s_add_u32 s4, s16, s4
	s_addc_u32 s5, s17, s5
	v_lshlrev_b64 v[1:2], 3, v[1:2]
	s_load_dwordx2 s[4:5], s[4:5], 0x0
	s_waitcnt lgkmcnt(0)
	v_mul_lo_u32 v6, s5, v30
	v_mul_lo_u32 v7, s4, v31
	v_mad_u64_u32 v[4:5], null, s4, v30, 0
	s_mov_b32 s4, exec_lo
	v_add3_u32 v5, v5, v7, v6
	v_mul_u32_u24_e32 v6, 0x6c, v3
	v_lshlrev_b64 v[3:4], 3, v[4:5]
	v_sub_nc_u32_e32 v28, v0, v6
	v_lshlrev_b32_e32 v29, 3, v28
	v_add_co_u32 v0, s0, s8, v3
	v_add_co_ci_u32_e64 v3, s0, s9, v4, s0
	v_add_co_u32 v0, s0, v0, v1
	v_add_co_ci_u32_e64 v1, s0, v3, v2, s0
	;; [unrolled: 2-line block ×3, first 2 shown]
	v_add_nc_u32_e32 v29, 0, v29
	v_add_co_u32 v4, s0, 0x800, v2
	v_add_co_ci_u32_e64 v5, s0, 0, v3, s0
	v_add_co_u32 v6, s0, 0x1000, v2
	v_add_co_ci_u32_e64 v7, s0, 0, v3, s0
	;; [unrolled: 2-line block ×6, first 2 shown]
	s_clause 0xf
	global_load_dwordx2 v[16:17], v[2:3], off
	global_load_dwordx2 v[18:19], v[2:3], off offset:864
	global_load_dwordx2 v[2:3], v[2:3], off offset:1728
	;; [unrolled: 1-line block ×15, first 2 shown]
	v_add_nc_u32_e32 v40, 0x400, v29
	v_add_nc_u32_e32 v41, 0xc00, v29
	;; [unrolled: 1-line block ×7, first 2 shown]
	s_waitcnt vmcnt(14)
	ds_write2_b64 v29, v[16:17], v[18:19] offset1:108
	s_waitcnt vmcnt(12)
	ds_write2_b64 v40, v[2:3], v[20:21] offset0:88 offset1:196
	s_waitcnt vmcnt(10)
	ds_write2_b64 v41, v[4:5], v[22:23] offset0:48 offset1:156
	;; [unrolled: 2-line block ×7, first 2 shown]
	v_cmpx_eq_u32_e32 0x6b, v28
	s_cbranch_execz .LBB0_14
; %bb.13:
	v_add_co_u32 v0, s0, 0x3000, v0
	v_add_co_ci_u32_e64 v1, s0, 0, v1, s0
	v_mov_b32_e32 v2, 0
	v_mov_b32_e32 v28, 0x6b
	global_load_dwordx2 v[0:1], v[0:1], off offset:1536
	s_waitcnt vmcnt(0)
	ds_write_b64 v2, v[0:1] offset:13824
.LBB0_14:
	s_or_b32 exec_lo, exec_lo, s4
.LBB0_15:
	s_or_b32 exec_lo, exec_lo, s1
	v_lshlrev_b32_e32 v0, 3, v28
	s_waitcnt lgkmcnt(0)
	s_barrier
	buffer_gl0_inv
	s_add_u32 s1, s12, 0x35e8
	v_add_nc_u32_e32 v42, 0, v0
	v_sub_nc_u32_e32 v4, 0, v0
	s_addc_u32 s4, s13, 0
	s_mov_b32 s5, exec_lo
                                        ; implicit-def: $vgpr2_vgpr3
	ds_read_b32 v5, v42
	ds_read_b32 v6, v4 offset:13824
	s_waitcnt lgkmcnt(0)
	v_add_f32_e32 v0, v6, v5
	v_sub_f32_e32 v1, v5, v6
	v_cmpx_ne_u32_e32 0, v28
	s_xor_b32 s5, exec_lo, s5
	s_cbranch_execz .LBB0_17
; %bb.16:
	v_mov_b32_e32 v29, 0
	v_add_f32_e32 v7, v6, v5
	v_sub_f32_e32 v8, v5, v6
	v_lshlrev_b64 v[0:1], 3, v[28:29]
	v_add_co_u32 v0, s0, s1, v0
	v_add_co_ci_u32_e64 v1, s0, s4, v1, s0
	global_load_dwordx2 v[2:3], v[0:1], off
	ds_read_b32 v0, v4 offset:13828
	ds_read_b32 v1, v42 offset:4
	s_waitcnt lgkmcnt(0)
	v_add_f32_e32 v9, v0, v1
	v_sub_f32_e32 v0, v1, v0
	s_waitcnt vmcnt(0)
	v_fma_f32 v5, -v8, v3, v7
	v_fma_f32 v6, v9, v3, -v0
	v_fma_f32 v10, v8, v3, v7
	v_fma_f32 v1, v9, v3, v0
	v_fmac_f32_e32 v5, v2, v9
	v_fmac_f32_e32 v6, v8, v2
	v_fma_f32 v0, -v2, v9, v10
	v_fmac_f32_e32 v1, v8, v2
	v_mov_b32_e32 v2, v28
	v_mov_b32_e32 v3, v29
	ds_write_b64 v4, v[5:6] offset:13824
.LBB0_17:
	s_andn2_saveexec_b32 s0, s5
	s_cbranch_execz .LBB0_19
; %bb.18:
	v_mov_b32_e32 v7, 0
	ds_read_b64 v[2:3], v7 offset:6912
	s_waitcnt lgkmcnt(0)
	v_add_f32_e32 v5, v2, v2
	v_mul_f32_e32 v6, -2.0, v3
	v_mov_b32_e32 v2, 0
	v_mov_b32_e32 v3, 0
	ds_write_b64 v7, v[5:6] offset:6912
.LBB0_19:
	s_or_b32 exec_lo, exec_lo, s0
	v_lshlrev_b64 v[2:3], 3, v[2:3]
	v_add_nc_u32_e32 v25, 0x1c00, v42
	v_add_nc_u32_e32 v29, 0x3000, v42
	v_add_co_u32 v2, s0, s1, v2
	v_add_co_ci_u32_e64 v3, s0, s4, v3, s0
	s_clause 0x1
	global_load_dwordx2 v[5:6], v[2:3], off offset:864
	global_load_dwordx2 v[7:8], v[2:3], off offset:1728
	v_add_co_u32 v9, s0, 0x800, v2
	v_add_co_ci_u32_e64 v10, s0, 0, v3, s0
	s_clause 0x1
	global_load_dwordx2 v[11:12], v[9:10], off offset:544
	global_load_dwordx2 v[9:10], v[9:10], off offset:1408
	;; [unrolled: 5-line block ×3, first 2 shown]
	global_load_dwordx2 v[2:3], v[2:3], off offset:1952
	ds_write_b64 v42, v[0:1]
	ds_read_b64 v[0:1], v42 offset:864
	ds_read_b64 v[17:18], v4 offset:12960
	v_cmp_gt_u32_e64 s0, 36, v28
	s_waitcnt lgkmcnt(0)
	v_add_f32_e32 v19, v0, v17
	v_add_f32_e32 v20, v18, v1
	v_sub_f32_e32 v21, v0, v17
	v_sub_f32_e32 v0, v1, v18
	s_waitcnt vmcnt(6)
	v_fma_f32 v22, v21, v6, v19
	v_fma_f32 v1, v20, v6, v0
	v_fma_f32 v17, -v21, v6, v19
	v_fma_f32 v18, v20, v6, -v0
	v_fma_f32 v0, -v5, v20, v22
	v_fmac_f32_e32 v1, v21, v5
	v_fmac_f32_e32 v17, v5, v20
	v_fmac_f32_e32 v18, v21, v5
	ds_write_b64 v42, v[0:1] offset:864
	ds_write_b64 v4, v[17:18] offset:12960
	ds_read_b64 v[0:1], v42 offset:1728
	ds_read_b64 v[5:6], v4 offset:12096
	s_waitcnt lgkmcnt(0)
	v_add_f32_e32 v17, v0, v5
	v_add_f32_e32 v18, v6, v1
	v_sub_f32_e32 v19, v0, v5
	v_sub_f32_e32 v0, v1, v6
	s_waitcnt vmcnt(5)
	v_fma_f32 v20, v19, v8, v17
	v_fma_f32 v1, v18, v8, v0
	v_fma_f32 v5, -v19, v8, v17
	v_fma_f32 v6, v18, v8, -v0
	v_fma_f32 v0, -v7, v18, v20
	v_fmac_f32_e32 v1, v19, v7
	v_fmac_f32_e32 v5, v7, v18
	v_fmac_f32_e32 v6, v19, v7
	ds_write_b64 v42, v[0:1] offset:1728
	ds_write_b64 v4, v[5:6] offset:12096
	ds_read_b64 v[0:1], v42 offset:2592
	ds_read_b64 v[5:6], v4 offset:11232
	;; [unrolled: 18-line block ×5, first 2 shown]
	s_waitcnt lgkmcnt(0)
	v_add_f32_e32 v7, v0, v5
	v_add_f32_e32 v8, v6, v1
	v_sub_f32_e32 v9, v0, v5
	v_sub_f32_e32 v0, v1, v6
	s_waitcnt vmcnt(1)
	v_fma_f32 v10, v9, v16, v7
	v_fma_f32 v1, v8, v16, v0
	v_fma_f32 v5, -v9, v16, v7
	v_fma_f32 v6, v8, v16, -v0
	v_add_nc_u32_e32 v7, 0x2000, v42
	v_fma_f32 v0, -v15, v8, v10
	v_fmac_f32_e32 v1, v9, v15
	v_fmac_f32_e32 v5, v15, v8
	;; [unrolled: 1-line block ×3, first 2 shown]
	ds_write_b64 v42, v[0:1] offset:5184
	ds_write_b64 v4, v[5:6] offset:8640
	ds_read_b64 v[0:1], v42 offset:6048
	ds_read_b64 v[5:6], v4 offset:7776
	s_waitcnt lgkmcnt(0)
	v_add_f32_e32 v8, v0, v5
	v_add_f32_e32 v13, v6, v1
	v_sub_f32_e32 v0, v0, v5
	v_sub_f32_e32 v1, v1, v6
	v_add_nc_u32_e32 v6, 0x1000, v42
	s_waitcnt vmcnt(0)
	v_fma_f32 v5, v0, v3, v8
	v_fma_f32 v10, v13, v3, v1
	v_fma_f32 v11, -v0, v3, v8
	v_fma_f32 v12, v13, v3, -v1
	v_add_nc_u32_e32 v1, 0x400, v42
	v_fma_f32 v9, -v2, v13, v5
	v_fmac_f32_e32 v10, v0, v2
	v_fmac_f32_e32 v11, v2, v13
	;; [unrolled: 1-line block ×3, first 2 shown]
	v_add_nc_u32_e32 v8, 0x1800, v42
	v_add_nc_u32_e32 v2, 0x2800, v42
	;; [unrolled: 1-line block ×3, first 2 shown]
	ds_write_b64 v42, v[9:10] offset:6048
	ds_write_b64 v4, v[11:12] offset:7776
	s_waitcnt lgkmcnt(0)
	s_barrier
	buffer_gl0_inv
	s_barrier
	buffer_gl0_inv
	ds_read2_b64 v[9:12], v42 offset1:108
	ds_read2_b64 v[13:16], v6 offset0:64 offset1:172
	ds_read2_b64 v[17:20], v7 offset0:128 offset1:236
	;; [unrolled: 1-line block ×8, first 2 shown]
	v_lshl_add_u32 v0, v28, 4, v42
	s_waitcnt lgkmcnt(0)
	s_barrier
	buffer_gl0_inv
	v_add_nc_u32_e32 v51, 0xa20, v0
	v_add_nc_u32_e32 v52, 0x1440, v0
	;; [unrolled: 1-line block ×5, first 2 shown]
	v_add_f32_e32 v63, v21, v32
	v_add_f32_e32 v66, v22, v33
	;; [unrolled: 1-line block ×5, first 2 shown]
	v_sub_f32_e32 v73, v44, v48
	v_add_f32_e32 v74, v3, v44
	v_add_f32_e32 v44, v44, v48
	;; [unrolled: 1-line block ×3, first 2 shown]
	v_sub_f32_e32 v77, v46, v50
	v_add_f32_e32 v78, v5, v46
	v_add_f32_e32 v46, v46, v50
	;; [unrolled: 1-line block ×6, first 2 shown]
	v_sub_f32_e32 v29, v14, v18
	v_sub_f32_e32 v56, v13, v17
	v_add_f32_e32 v57, v11, v15
	v_add_f32_e32 v60, v12, v16
	;; [unrolled: 1-line block ×3, first 2 shown]
	v_sub_f32_e32 v65, v33, v37
	v_add_f32_e32 v33, v33, v37
	v_sub_f32_e32 v67, v32, v36
	v_add_f32_e32 v32, v23, v34
	v_add_f32_e32 v68, v34, v38
	v_sub_f32_e32 v69, v35, v39
	v_add_f32_e32 v70, v24, v35
	;; [unrolled: 3-line block ×3, first 2 shown]
	v_sub_f32_e32 v75, v43, v47
	v_add_f32_e32 v43, v4, v45
	v_sub_f32_e32 v79, v45, v49
	v_add_f32_e32 v13, v1, v17
	v_add_f32_e32 v14, v40, v18
	;; [unrolled: 1-line block ×4, first 2 shown]
	v_fma_f32 v36, -0.5, v72, v2
	v_fma_f32 v37, -0.5, v44, v3
	;; [unrolled: 1-line block ×3, first 2 shown]
	v_fmac_f32_e32 v5, -0.5, v46
	v_fma_f32 v9, -0.5, v25, v9
	v_fma_f32 v10, -0.5, v41, v10
	v_sub_f32_e32 v59, v16, v20
	v_sub_f32_e32 v62, v15, v19
	v_fma_f32 v11, -0.5, v58, v11
	v_fmac_f32_e32 v12, -0.5, v61
	v_add_f32_e32 v15, v57, v19
	v_add_f32_e32 v16, v60, v20
	;; [unrolled: 1-line block ×4, first 2 shown]
	v_fma_f32 v21, -0.5, v64, v21
	v_fma_f32 v22, -0.5, v33, v22
	;; [unrolled: 1-line block ×3, first 2 shown]
	v_fmac_f32_e32 v24, -0.5, v35
	v_add_f32_e32 v32, v34, v47
	v_add_f32_e32 v33, v74, v48
	v_add_f32_e32 v34, v43, v49
	v_add_f32_e32 v35, v78, v50
	v_fmamk_f32 v38, v73, 0x3f5db3d7, v36
	v_fmac_f32_e32 v36, 0xbf5db3d7, v73
	v_fmamk_f32 v39, v75, 0xbf5db3d7, v37
	v_fmac_f32_e32 v37, 0x3f5db3d7, v75
	v_fmamk_f32 v40, v77, 0x3f5db3d7, v4
	v_fmac_f32_e32 v4, 0xbf5db3d7, v77
	v_fmamk_f32 v41, v79, 0xbf5db3d7, v5
	v_fmac_f32_e32 v5, 0x3f5db3d7, v79
	v_fmamk_f32 v1, v29, 0x3f5db3d7, v9
	v_fmamk_f32 v2, v56, 0xbf5db3d7, v10
	v_fmac_f32_e32 v9, 0xbf5db3d7, v29
	v_fmac_f32_e32 v10, 0x3f5db3d7, v56
	v_fmamk_f32 v43, v59, 0x3f5db3d7, v11
	v_fmamk_f32 v44, v62, 0xbf5db3d7, v12
	v_fmac_f32_e32 v11, 0xbf5db3d7, v59
	v_fmac_f32_e32 v12, 0x3f5db3d7, v62
	v_fmamk_f32 v45, v65, 0x3f5db3d7, v21
	v_fmac_f32_e32 v21, 0xbf5db3d7, v65
	v_fmamk_f32 v46, v67, 0xbf5db3d7, v22
	;; [unrolled: 2-line block ×4, first 2 shown]
	v_fmac_f32_e32 v24, 0x3f5db3d7, v71
	ds_write_b32 v0, v32 offset:10368
	ds_write2_b64 v0, v[13:14], v[1:2] offset1:1
	ds_write_b64 v0, v[9:10] offset:16
	ds_write2_b64 v51, v[15:16], v[43:44] offset1:1
	ds_write_b64 v0, v[11:12] offset:2608
	;; [unrolled: 2-line block ×4, first 2 shown]
	ds_write2_b32 v54, v33, v38 offset1:1
	ds_write2_b32 v55, v39, v36 offset1:1
	ds_write_b32 v0, v37 offset:10388
	s_and_saveexec_b32 s1, s0
	s_cbranch_execz .LBB0_21
; %bb.20:
	v_add_nc_u32_e32 v1, 0x32a0, v0
	ds_write2_b64 v1, v[34:35], v[40:41] offset1:1
	ds_write_b64 v0, v[4:5] offset:12976
.LBB0_21:
	s_or_b32 exec_lo, exec_lo, s1
	v_add_nc_u32_e32 v9, 0x800, v42
	v_add_nc_u32_e32 v29, 0x2c00, v42
	s_waitcnt lgkmcnt(0)
	s_barrier
	buffer_gl0_inv
	ds_read2_b64 v[0:3], v42 offset1:108
	ds_read2_b64 v[22:25], v9 offset0:32 offset1:140
	ds_read2_b64 v[18:21], v6 offset0:64 offset1:172
	ds_read2_b64 v[14:17], v8 offset0:96 offset1:204
	ds_read2_b64 v[10:13], v7 offset0:128 offset1:236
	ds_read2_b64 v[6:9], v29 offset0:32 offset1:140
	v_cmp_gt_u32_e64 s0, 0x48, v28
	s_and_saveexec_b32 s1, s0
	s_cbranch_execz .LBB0_23
; %bb.22:
	ds_read_b64 v[32:33], v42 offset:1728
	ds_read_b64 v[38:39], v42 offset:4032
	;; [unrolled: 1-line block ×6, first 2 shown]
.LBB0_23:
	s_or_b32 exec_lo, exec_lo, s1
	v_add_nc_u32_e32 v29, 0xd8, v28
	v_mov_b32_e32 v43, 0xaaab
	v_mov_b32_e32 v48, 5
	v_and_b32_e32 v44, 0xff, v28
	v_mul_u32_u24_sdwa v43, v29, v43 dst_sel:DWORD dst_unused:UNUSED_PAD src0_sel:WORD_0 src1_sel:DWORD
	v_mul_lo_u16 v45, 0xab, v44
	v_lshrrev_b32_e32 v46, 17, v43
	v_lshrrev_b16 v72, 9, v45
	v_mul_lo_u16 v43, v46, 3
	v_mul_lo_u16 v58, v72, 3
	v_sub_nc_u16 v47, v29, v43
	v_sub_nc_u16 v73, v28, v58
	v_mul_u32_u24_sdwa v43, v47, v48 dst_sel:DWORD dst_unused:UNUSED_PAD src0_sel:WORD_0 src1_sel:DWORD
	v_mul_u32_u24_sdwa v58, v73, v48 dst_sel:DWORD dst_unused:UNUSED_PAD src0_sel:BYTE_0 src1_sel:DWORD
	v_lshlrev_b32_e32 v49, 3, v43
	v_add_nc_u16 v43, v28, 0x6c
	v_lshlrev_b32_e32 v75, 3, v58
	s_clause 0x1
	global_load_dwordx4 v[50:53], v49, s[12:13]
	global_load_dwordx4 v[54:57], v49, s[12:13] offset:16
	v_and_b32_e32 v45, 0xff, v43
	v_mul_lo_u16 v59, 0xab, v45
	v_lshrrev_b16 v74, 9, v59
	v_mul_lo_u16 v59, v74, 3
	v_sub_nc_u16 v76, v43, v59
	s_clause 0x2
	global_load_dwordx2 v[70:71], v49, s[12:13] offset:32
	global_load_dwordx4 v[58:61], v75, s[12:13]
	global_load_dwordx4 v[62:65], v75, s[12:13] offset:16
	v_mul_u32_u24_sdwa v66, v76, v48 dst_sel:DWORD dst_unused:UNUSED_PAD src0_sel:BYTE_0 src1_sel:DWORD
	v_lshlrev_b32_e32 v77, 3, v66
	s_waitcnt vmcnt(4) lgkmcnt(4)
	v_mul_f32_e32 v67, v39, v51
	v_mul_f32_e32 v48, v38, v51
	s_waitcnt lgkmcnt(3)
	v_mul_f32_e32 v51, v37, v53
	v_mul_f32_e32 v49, v36, v53
	v_fma_f32 v38, v38, v50, -v67
	global_load_dwordx4 v[66:69], v77, s[12:13]
	v_fmac_f32_e32 v48, v39, v50
	v_fma_f32 v39, v36, v52, -v51
	v_fmac_f32_e32 v49, v37, v52
	s_waitcnt vmcnt(4) lgkmcnt(2)
	v_mul_f32_e32 v50, v35, v55
	v_mul_f32_e32 v37, v34, v55
	s_waitcnt lgkmcnt(1)
	v_mul_f32_e32 v51, v41, v57
	v_mul_f32_e32 v36, v40, v57
	v_fma_f32 v50, v34, v54, -v50
	v_fmac_f32_e32 v37, v35, v54
	global_load_dwordx4 v[52:55], v77, s[12:13] offset:16
	v_fma_f32 v34, v40, v56, -v51
	v_fmac_f32_e32 v36, v41, v56
	s_clause 0x1
	global_load_dwordx2 v[40:41], v75, s[12:13] offset:32
	global_load_dwordx2 v[56:57], v77, s[12:13] offset:32
	v_mov_b32_e32 v35, 0x90
	v_mov_b32_e32 v51, 3
	s_waitcnt vmcnt(5)
	v_mul_f32_e32 v75, v61, v19
	s_waitcnt vmcnt(0) lgkmcnt(0)
	s_barrier
	v_mul_u32_u24_sdwa v72, v72, v35 dst_sel:DWORD dst_unused:UNUSED_PAD src0_sel:WORD_0 src1_sel:DWORD
	v_mul_u32_u24_sdwa v35, v74, v35 dst_sel:DWORD dst_unused:UNUSED_PAD src0_sel:WORD_0 src1_sel:DWORD
	v_lshlrev_b32_sdwa v73, v51, v73 dst_sel:DWORD dst_unused:UNUSED_PAD src0_sel:DWORD src1_sel:BYTE_0
	v_lshlrev_b32_sdwa v74, v51, v76 dst_sel:DWORD dst_unused:UNUSED_PAD src0_sel:DWORD src1_sel:BYTE_0
	buffer_gl0_inv
	v_add3_u32 v72, 0, v72, v73
	v_add3_u32 v73, 0, v35, v74
	v_mul_f32_e32 v35, v5, v71
	v_mul_f32_e32 v71, v4, v71
	;; [unrolled: 1-line block ×4, first 2 shown]
	v_fma_f32 v4, v4, v70, -v35
	v_fmac_f32_e32 v71, v5, v70
	v_mul_f32_e32 v5, v61, v18
	v_mul_f32_e32 v35, v63, v15
	v_mul_f32_e32 v61, v63, v14
	v_mul_f32_e32 v63, v65, v11
	v_mul_f32_e32 v65, v65, v10
	v_fmac_f32_e32 v59, v58, v23
	v_fmac_f32_e32 v5, v60, v19
	v_fma_f32 v18, v60, v18, -v75
	v_fma_f32 v14, v62, v14, -v35
	v_fmac_f32_e32 v61, v62, v15
	v_fmac_f32_e32 v65, v64, v11
	v_fma_f32 v10, v64, v10, -v63
	v_fma_f32 v22, v58, v22, -v74
	v_mul_f32_e32 v19, v67, v25
	v_mul_f32_e32 v23, v67, v24
	;; [unrolled: 1-line block ×4, first 2 shown]
	v_fma_f32 v19, v66, v24, -v19
	v_fmac_f32_e32 v23, v66, v25
	v_fmac_f32_e32 v60, v68, v21
	v_add_f32_e32 v21, v59, v61
	v_fma_f32 v20, v68, v20, -v58
	v_mul_f32_e32 v11, v53, v17
	v_mul_f32_e32 v15, v53, v16
	;; [unrolled: 1-line block ×8, first 2 shown]
	v_fma_f32 v11, v52, v16, -v11
	v_fma_f32 v6, v40, v6, -v55
	v_fmac_f32_e32 v24, v40, v7
	v_fma_f32 v7, v8, v56, -v25
	v_add_f32_e32 v8, v0, v18
	v_fmac_f32_e32 v15, v52, v17
	v_fma_f32 v12, v12, v54, -v35
	v_fmac_f32_e32 v53, v13, v54
	v_fmac_f32_e32 v41, v9, v56
	v_add_f32_e32 v9, v18, v10
	v_sub_f32_e32 v13, v5, v65
	v_add_f32_e32 v16, v1, v5
	v_add_f32_e32 v5, v5, v65
	;; [unrolled: 1-line block ×3, first 2 shown]
	v_sub_f32_e32 v40, v49, v36
	v_add_f32_e32 v52, v33, v49
	v_add_f32_e32 v49, v49, v36
	;; [unrolled: 1-line block ×4, first 2 shown]
	v_sub_f32_e32 v56, v37, v71
	v_add_f32_e32 v57, v48, v37
	v_add_f32_e32 v37, v37, v71
	v_sub_f32_e32 v17, v18, v10
	v_add_f32_e32 v18, v22, v14
	v_add_f32_e32 v25, v32, v39
	;; [unrolled: 1-line block ×5, first 2 shown]
	v_sub_f32_e32 v58, v61, v24
	v_add_f32_e32 v24, v61, v24
	v_add_f32_e32 v16, v16, v65
	v_fmac_f32_e32 v32, -0.5, v35
	v_add_f32_e32 v35, v52, v36
	v_fmac_f32_e32 v33, -0.5, v49
	v_fma_f32 v49, -0.5, v9, v0
	v_fma_f32 v52, -0.5, v5, v1
	v_add_f32_e32 v9, v54, v4
	v_fmac_f32_e32 v38, -0.5, v55
	v_sub_f32_e32 v54, v60, v53
	v_fmac_f32_e32 v48, -0.5, v37
	v_add_f32_e32 v37, v3, v60
	v_add_f32_e32 v55, v60, v53
	;; [unrolled: 1-line block ×5, first 2 shown]
	v_sub_f32_e32 v39, v39, v34
	v_sub_f32_e32 v50, v50, v4
	v_add_f32_e32 v18, v18, v6
	v_sub_f32_e32 v6, v14, v6
	v_add_f32_e32 v14, v25, v34
	v_add_f32_e32 v25, v2, v20
	;; [unrolled: 1-line block ×5, first 2 shown]
	v_fmac_f32_e32 v22, -0.5, v10
	v_fmac_f32_e32 v59, -0.5, v24
	v_sub_f32_e32 v11, v11, v7
	v_sub_f32_e32 v15, v15, v41
	v_add_f32_e32 v1, v16, v21
	v_sub_f32_e32 v5, v16, v21
	v_fmamk_f32 v16, v13, 0x3f5db3d7, v49
	v_fmac_f32_e32 v49, 0xbf5db3d7, v13
	v_fmamk_f32 v13, v17, 0xbf5db3d7, v52
	v_fmac_f32_e32 v52, 0x3f5db3d7, v17
	v_add_f32_e32 v10, v37, v53
	v_fmac_f32_e32 v19, -0.5, v60
	v_add_f32_e32 v17, v61, v41
	v_fmac_f32_e32 v23, -0.5, v62
	v_fmamk_f32 v37, v56, 0x3f5db3d7, v38
	v_fmac_f32_e32 v38, 0xbf5db3d7, v56
	v_sub_f32_e32 v20, v20, v12
	v_add_f32_e32 v0, v8, v18
	v_sub_f32_e32 v4, v8, v18
	v_add_f32_e32 v8, v25, v12
	v_fmac_f32_e32 v3, -0.5, v55
	v_add_f32_e32 v12, v57, v7
	v_fma_f32 v2, -0.5, v34, v2
	v_fmamk_f32 v21, v39, 0xbf5db3d7, v33
	v_fmac_f32_e32 v33, 0x3f5db3d7, v39
	v_fmamk_f32 v39, v50, 0xbf5db3d7, v48
	v_fmac_f32_e32 v48, 0x3f5db3d7, v50
	v_add_f32_e32 v24, v14, v9
	v_add_f32_e32 v25, v35, v36
	v_sub_f32_e32 v34, v14, v9
	v_sub_f32_e32 v35, v35, v36
	v_fmamk_f32 v14, v58, 0x3f5db3d7, v22
	v_fmamk_f32 v36, v6, 0xbf5db3d7, v59
	v_fmac_f32_e32 v22, 0xbf5db3d7, v58
	v_fmac_f32_e32 v59, 0x3f5db3d7, v6
	v_add_f32_e32 v7, v10, v17
	v_sub_f32_e32 v9, v10, v17
	v_fmamk_f32 v10, v15, 0x3f5db3d7, v19
	v_fmac_f32_e32 v19, 0xbf5db3d7, v15
	v_fmamk_f32 v15, v11, 0xbf5db3d7, v23
	v_mul_f32_e32 v17, -0.5, v38
	v_fmac_f32_e32 v23, 0x3f5db3d7, v11
	v_add_f32_e32 v6, v8, v12
	v_sub_f32_e32 v8, v8, v12
	v_fmamk_f32 v50, v54, 0x3f5db3d7, v2
	v_fmac_f32_e32 v2, 0xbf5db3d7, v54
	v_fmamk_f32 v53, v20, 0xbf5db3d7, v3
	v_fmac_f32_e32 v3, 0x3f5db3d7, v20
	v_mul_f32_e32 v12, 0x3f5db3d7, v39
	v_mul_f32_e32 v11, 0xbf5db3d7, v37
	v_mul_f32_e32 v20, -0.5, v48
	v_mul_f32_e32 v54, 0x3f5db3d7, v36
	v_mul_f32_e32 v55, 0xbf5db3d7, v14
	v_mul_f32_e32 v56, -0.5, v22
	v_mul_f32_e32 v57, -0.5, v59
	v_fmac_f32_e32 v17, 0x3f5db3d7, v48
	v_mul_f32_e32 v48, 0x3f5db3d7, v15
	v_mul_f32_e32 v60, 0xbf5db3d7, v10
	v_mul_f32_e32 v58, -0.5, v19
	v_mul_f32_e32 v61, -0.5, v23
	v_fmamk_f32 v18, v40, 0x3f5db3d7, v32
	v_fmac_f32_e32 v32, 0xbf5db3d7, v40
	v_fmac_f32_e32 v12, 0.5, v37
	v_fmac_f32_e32 v11, 0.5, v39
	v_fmac_f32_e32 v20, 0xbf5db3d7, v38
	v_fmac_f32_e32 v54, 0.5, v14
	v_fmac_f32_e32 v55, 0.5, v36
	v_fmac_f32_e32 v56, 0x3f5db3d7, v59
	v_fmac_f32_e32 v57, 0xbf5db3d7, v22
	v_fmac_f32_e32 v48, 0.5, v10
	v_fmac_f32_e32 v60, 0.5, v15
	v_fmac_f32_e32 v58, 0x3f5db3d7, v23
	v_fmac_f32_e32 v61, 0xbf5db3d7, v19
	v_add_f32_e32 v36, v18, v12
	v_add_f32_e32 v37, v21, v11
	v_sub_f32_e32 v40, v18, v12
	v_sub_f32_e32 v41, v21, v11
	v_add_f32_e32 v38, v32, v17
	v_add_f32_e32 v39, v33, v20
	v_sub_f32_e32 v32, v32, v17
	v_sub_f32_e32 v33, v33, v20
	v_add_f32_e32 v10, v16, v54
	v_add_f32_e32 v11, v13, v55
	;; [unrolled: 1-line block ×4, first 2 shown]
	v_sub_f32_e32 v12, v16, v54
	v_sub_f32_e32 v13, v13, v55
	;; [unrolled: 1-line block ×4, first 2 shown]
	v_add_f32_e32 v18, v50, v48
	v_add_f32_e32 v19, v53, v60
	;; [unrolled: 1-line block ×4, first 2 shown]
	v_sub_f32_e32 v20, v50, v48
	v_sub_f32_e32 v21, v53, v60
	v_sub_f32_e32 v2, v2, v58
	v_sub_f32_e32 v3, v3, v61
	ds_write2_b64 v72, v[0:1], v[10:11] offset1:3
	ds_write2_b64 v72, v[14:15], v[4:5] offset0:6 offset1:9
	ds_write2_b64 v72, v[12:13], v[16:17] offset0:12 offset1:15
	ds_write2_b64 v73, v[6:7], v[18:19] offset1:3
	ds_write2_b64 v73, v[22:23], v[8:9] offset0:6 offset1:9
	ds_write2_b64 v73, v[20:21], v[2:3] offset0:12 offset1:15
	s_and_saveexec_b32 s1, s0
	s_cbranch_execz .LBB0_25
; %bb.24:
	v_mul_lo_u16 v0, v46, 18
	v_lshlrev_b32_sdwa v1, v51, v47 dst_sel:DWORD dst_unused:UNUSED_PAD src0_sel:DWORD src1_sel:WORD_0
	v_lshlrev_b32_sdwa v0, v51, v0 dst_sel:DWORD dst_unused:UNUSED_PAD src0_sel:DWORD src1_sel:WORD_0
	v_add3_u32 v0, 0, v1, v0
	ds_write2_b64 v0, v[24:25], v[36:37] offset1:3
	ds_write2_b64 v0, v[38:39], v[34:35] offset0:6 offset1:9
	ds_write2_b64 v0, v[40:41], v[32:33] offset0:12 offset1:15
.LBB0_25:
	s_or_b32 exec_lo, exec_lo, s1
	v_add_nc_u32_e32 v4, 0x800, v42
	v_add_nc_u32_e32 v5, 0x1000, v42
	;; [unrolled: 1-line block ×5, first 2 shown]
	s_waitcnt lgkmcnt(0)
	s_barrier
	buffer_gl0_inv
	ds_read2_b64 v[0:3], v42 offset1:108
	ds_read2_b64 v[20:23], v4 offset0:32 offset1:140
	ds_read2_b64 v[16:19], v5 offset0:64 offset1:172
	;; [unrolled: 1-line block ×5, first 2 shown]
	s_and_saveexec_b32 s1, s0
	s_cbranch_execz .LBB0_27
; %bb.26:
	ds_read_b64 v[24:25], v42 offset:1728
	ds_read_b64 v[36:37], v42 offset:4032
	;; [unrolled: 1-line block ×6, first 2 shown]
.LBB0_27:
	s_or_b32 exec_lo, exec_lo, s1
	v_mul_lo_u16 v44, v44, 57
	v_mul_lo_u16 v45, v45, 57
	v_mov_b32_e32 v69, 0x360
	v_lshrrev_b16 v65, 10, v44
	v_lshrrev_b16 v66, 10, v45
	v_mov_b32_e32 v44, 5
	v_mul_lo_u16 v46, v65, 18
	v_mul_lo_u16 v45, v66, 18
	v_mul_u32_u24_sdwa v66, v66, v69 dst_sel:DWORD dst_unused:UNUSED_PAD src0_sel:WORD_0 src1_sel:DWORD
	v_mul_u32_u24_sdwa v65, v65, v69 dst_sel:DWORD dst_unused:UNUSED_PAD src0_sel:WORD_0 src1_sel:DWORD
	v_sub_nc_u16 v67, v28, v46
	v_sub_nc_u16 v68, v43, v45
	v_mul_u32_u24_sdwa v46, v67, v44 dst_sel:DWORD dst_unused:UNUSED_PAD src0_sel:BYTE_0 src1_sel:DWORD
	v_mul_u32_u24_sdwa v53, v68, v44 dst_sel:DWORD dst_unused:UNUSED_PAD src0_sel:BYTE_0 src1_sel:DWORD
	v_lshlrev_b32_e32 v43, 3, v46
	v_lshlrev_b32_e32 v63, 3, v53
	s_clause 0x5
	global_load_dwordx4 v[45:48], v43, s[12:13] offset:120
	global_load_dwordx4 v[49:52], v43, s[12:13] offset:136
	global_load_dwordx2 v[61:62], v43, s[12:13] offset:152
	global_load_dwordx4 v[53:56], v63, s[12:13] offset:120
	global_load_dwordx4 v[57:60], v63, s[12:13] offset:136
	global_load_dwordx2 v[63:64], v63, s[12:13] offset:152
	v_mov_b32_e32 v43, 3
	s_waitcnt vmcnt(0) lgkmcnt(0)
	s_barrier
	buffer_gl0_inv
	v_lshlrev_b32_sdwa v68, v43, v68 dst_sel:DWORD dst_unused:UNUSED_PAD src0_sel:DWORD src1_sel:BYTE_0
	v_lshlrev_b32_sdwa v67, v43, v67 dst_sel:DWORD dst_unused:UNUSED_PAD src0_sel:DWORD src1_sel:BYTE_0
	v_add3_u32 v66, 0, v66, v68
	v_add3_u32 v65, 0, v65, v67
	v_mul_f32_e32 v71, v62, v5
	v_mul_f32_e32 v68, v48, v17
	;; [unrolled: 1-line block ×20, first 2 shown]
	v_fma_f32 v16, v47, v16, -v68
	v_fmac_f32_e32 v48, v47, v17
	v_fma_f32 v12, v49, v12, -v69
	v_fmac_f32_e32 v50, v49, v13
	;; [unrolled: 2-line block ×4, first 2 shown]
	v_fmac_f32_e32 v46, v45, v21
	v_fma_f32 v9, v57, v14, -v74
	v_fmac_f32_e32 v58, v57, v15
	v_fma_f32 v6, v6, v63, -v76
	v_fmac_f32_e32 v64, v7, v63
	v_fma_f32 v20, v45, v20, -v67
	v_fmac_f32_e32 v54, v53, v23
	v_fmac_f32_e32 v56, v55, v19
	;; [unrolled: 1-line block ×3, first 2 shown]
	v_add_f32_e32 v11, v16, v8
	v_add_f32_e32 v17, v48, v52
	v_add_f32_e32 v19, v12, v4
	v_add_f32_e32 v23, v50, v62
	v_fma_f32 v13, v53, v22, -v72
	v_fma_f32 v5, v55, v18, -v73
	;; [unrolled: 1-line block ×3, first 2 shown]
	v_add_f32_e32 v7, v0, v16
	v_add_f32_e32 v15, v1, v48
	;; [unrolled: 1-line block ×5, first 2 shown]
	v_sub_f32_e32 v14, v48, v52
	v_sub_f32_e32 v16, v16, v8
	v_add_f32_e32 v18, v20, v12
	v_sub_f32_e32 v21, v50, v62
	v_sub_f32_e32 v12, v12, v4
	v_sub_f32_e32 v48, v56, v60
	v_add_f32_e32 v49, v3, v56
	v_add_f32_e32 v50, v56, v60
	v_sub_f32_e32 v55, v58, v64
	v_add_f32_e32 v56, v54, v58
	v_fma_f32 v58, -0.5, v11, v0
	v_fma_f32 v17, -0.5, v17, v1
	v_fmac_f32_e32 v20, -0.5, v19
	v_fmac_f32_e32 v46, -0.5, v23
	v_add_f32_e32 v45, v2, v5
	v_add_f32_e32 v47, v5, v10
	v_sub_f32_e32 v51, v5, v10
	v_add_f32_e32 v5, v13, v9
	v_sub_f32_e32 v9, v9, v6
	v_add_f32_e32 v7, v7, v8
	v_add_f32_e32 v8, v15, v52
	;; [unrolled: 1-line block ×3, first 2 shown]
	v_fmac_f32_e32 v13, -0.5, v53
	v_fmac_f32_e32 v54, -0.5, v57
	v_add_f32_e32 v4, v18, v4
	v_add_f32_e32 v15, v49, v60
	;; [unrolled: 1-line block ×3, first 2 shown]
	v_fmamk_f32 v22, v14, 0x3f5db3d7, v58
	v_fmac_f32_e32 v58, 0xbf5db3d7, v14
	v_fmamk_f32 v23, v16, 0xbf5db3d7, v17
	v_fmac_f32_e32 v17, 0x3f5db3d7, v16
	v_fmamk_f32 v14, v21, 0x3f5db3d7, v20
	v_fmamk_f32 v16, v12, 0xbf5db3d7, v46
	v_add_f32_e32 v10, v45, v10
	v_add_f32_e32 v18, v5, v6
	v_fmac_f32_e32 v20, 0xbf5db3d7, v21
	v_fmac_f32_e32 v46, 0x3f5db3d7, v12
	v_fma_f32 v2, -0.5, v47, v2
	v_add_f32_e32 v1, v8, v11
	v_sub_f32_e32 v5, v8, v11
	v_fmamk_f32 v11, v55, 0x3f5db3d7, v13
	v_fmamk_f32 v12, v9, 0xbf5db3d7, v54
	v_fmac_f32_e32 v3, -0.5, v50
	v_fmac_f32_e32 v13, 0xbf5db3d7, v55
	v_fmac_f32_e32 v54, 0x3f5db3d7, v9
	v_add_f32_e32 v0, v7, v4
	v_sub_f32_e32 v4, v7, v4
	v_add_f32_e32 v7, v15, v19
	v_sub_f32_e32 v9, v15, v19
	v_mul_f32_e32 v15, 0x3f5db3d7, v16
	v_mul_f32_e32 v19, 0xbf5db3d7, v14
	v_add_f32_e32 v6, v10, v18
	v_sub_f32_e32 v8, v10, v18
	v_mul_f32_e32 v18, -0.5, v20
	v_mul_f32_e32 v21, -0.5, v46
	v_fmamk_f32 v45, v48, 0x3f5db3d7, v2
	v_fmac_f32_e32 v2, 0xbf5db3d7, v48
	v_mul_f32_e32 v48, 0x3f5db3d7, v12
	v_mul_f32_e32 v50, 0xbf5db3d7, v11
	v_fmamk_f32 v47, v51, 0xbf5db3d7, v3
	v_fmac_f32_e32 v3, 0x3f5db3d7, v51
	v_mul_f32_e32 v49, -0.5, v13
	v_mul_f32_e32 v51, -0.5, v54
	v_fmac_f32_e32 v15, 0.5, v14
	v_fmac_f32_e32 v19, 0.5, v16
	v_fmac_f32_e32 v18, 0x3f5db3d7, v46
	v_fmac_f32_e32 v21, 0xbf5db3d7, v20
	v_fmac_f32_e32 v48, 0.5, v11
	v_fmac_f32_e32 v50, 0.5, v12
	v_fmac_f32_e32 v49, 0x3f5db3d7, v54
	v_fmac_f32_e32 v51, 0xbf5db3d7, v13
	v_add_f32_e32 v10, v22, v15
	v_add_f32_e32 v11, v23, v19
	;; [unrolled: 1-line block ×4, first 2 shown]
	v_sub_f32_e32 v14, v22, v15
	v_sub_f32_e32 v16, v58, v18
	;; [unrolled: 1-line block ×4, first 2 shown]
	v_add_f32_e32 v18, v45, v48
	v_add_f32_e32 v19, v47, v50
	;; [unrolled: 1-line block ×4, first 2 shown]
	v_sub_f32_e32 v22, v45, v48
	v_sub_f32_e32 v2, v2, v49
	;; [unrolled: 1-line block ×4, first 2 shown]
	ds_write2_b64 v65, v[0:1], v[10:11] offset1:18
	ds_write2_b64 v65, v[12:13], v[4:5] offset0:36 offset1:54
	ds_write2_b64 v65, v[14:15], v[16:17] offset0:72 offset1:90
	ds_write2_b64 v66, v[6:7], v[18:19] offset1:18
	ds_write2_b64 v66, v[20:21], v[8:9] offset0:36 offset1:54
	ds_write2_b64 v66, v[22:23], v[2:3] offset0:72 offset1:90
	s_and_saveexec_b32 s1, s0
	s_cbranch_execz .LBB0_29
; %bb.28:
	v_mov_b32_e32 v0, 0xe38f
	v_mul_u32_u24_sdwa v0, v29, v0 dst_sel:DWORD dst_unused:UNUSED_PAD src0_sel:WORD_0 src1_sel:DWORD
	v_lshrrev_b32_e32 v10, 20, v0
	v_mul_lo_u16 v0, v10, 18
	v_mul_lo_u16 v10, 0x6c, v10
	v_sub_nc_u16 v11, v29, v0
	v_lshlrev_b32_sdwa v10, v43, v10 dst_sel:DWORD dst_unused:UNUSED_PAD src0_sel:DWORD src1_sel:WORD_0
	v_mul_u32_u24_sdwa v0, v11, v44 dst_sel:DWORD dst_unused:UNUSED_PAD src0_sel:WORD_0 src1_sel:DWORD
	v_lshlrev_b32_sdwa v11, v43, v11 dst_sel:DWORD dst_unused:UNUSED_PAD src0_sel:DWORD src1_sel:WORD_0
	v_lshlrev_b32_e32 v8, 3, v0
	v_add3_u32 v12, 0, v11, v10
	s_clause 0x2
	global_load_dwordx4 v[0:3], v8, s[12:13] offset:120
	global_load_dwordx4 v[4:7], v8, s[12:13] offset:136
	global_load_dwordx2 v[8:9], v8, s[12:13] offset:152
	s_waitcnt vmcnt(2)
	v_mul_f32_e32 v10, v39, v3
	s_waitcnt vmcnt(1)
	v_mul_f32_e32 v11, v41, v7
	v_mul_f32_e32 v3, v38, v3
	;; [unrolled: 1-line block ×5, first 2 shown]
	s_waitcnt vmcnt(0)
	v_mul_f32_e32 v15, v33, v9
	v_mul_f32_e32 v5, v34, v5
	;; [unrolled: 1-line block ×4, first 2 shown]
	v_fma_f32 v10, v38, v2, -v10
	v_fma_f32 v11, v40, v6, -v11
	v_fmac_f32_e32 v3, v39, v2
	v_fmac_f32_e32 v7, v41, v6
	v_fma_f32 v2, v36, v0, -v13
	v_fma_f32 v6, v34, v4, -v14
	;; [unrolled: 1-line block ×3, first 2 shown]
	v_fmac_f32_e32 v5, v35, v4
	v_fmac_f32_e32 v9, v33, v8
	;; [unrolled: 1-line block ×3, first 2 shown]
	v_add_f32_e32 v4, v3, v7
	v_add_f32_e32 v8, v6, v13
	v_sub_f32_e32 v0, v10, v11
	v_add_f32_e32 v16, v5, v9
	v_sub_f32_e32 v14, v5, v9
	v_sub_f32_e32 v15, v6, v13
	v_add_f32_e32 v18, v10, v11
	v_add_f32_e32 v10, v24, v10
	;; [unrolled: 1-line block ×3, first 2 shown]
	v_fma_f32 v19, -0.5, v4, v25
	v_fma_f32 v4, -0.5, v8, v2
	;; [unrolled: 1-line block ×3, first 2 shown]
	v_add_f32_e32 v8, v10, v11
	v_add_f32_e32 v17, v25, v3
	;; [unrolled: 1-line block ×3, first 2 shown]
	v_fmamk_f32 v10, v14, 0xbf5db3d7, v4
	v_fmamk_f32 v11, v15, 0x3f5db3d7, v2
	v_fmac_f32_e32 v2, 0xbf5db3d7, v15
	v_fmac_f32_e32 v4, 0x3f5db3d7, v14
	v_sub_f32_e32 v3, v3, v7
	v_fma_f32 v16, -0.5, v18, v24
	v_add_f32_e32 v7, v17, v7
	v_mul_f32_e32 v18, 0x3f5db3d7, v2
	v_mul_f32_e32 v15, 0xbf5db3d7, v4
	v_mul_f32_e32 v14, -0.5, v11
	v_mul_f32_e32 v17, -0.5, v10
	v_add_f32_e32 v5, v5, v9
	v_add_f32_e32 v6, v6, v13
	v_fmamk_f32 v9, v0, 0x3f5db3d7, v19
	v_fmac_f32_e32 v19, 0xbf5db3d7, v0
	v_fmamk_f32 v13, v3, 0xbf5db3d7, v16
	v_fmac_f32_e32 v16, 0x3f5db3d7, v3
	v_fmac_f32_e32 v15, 0.5, v2
	v_fmac_f32_e32 v18, 0.5, v4
	v_fmac_f32_e32 v14, 0xbf5db3d7, v10
	v_fmac_f32_e32 v17, 0x3f5db3d7, v11
	v_add_f32_e32 v3, v7, v5
	v_add_f32_e32 v2, v8, v6
	;; [unrolled: 1-line block ×4, first 2 shown]
	v_sub_f32_e32 v1, v7, v5
	v_sub_f32_e32 v0, v8, v6
	;; [unrolled: 1-line block ×3, first 2 shown]
	v_add_f32_e32 v9, v9, v14
	v_add_f32_e32 v8, v13, v17
	v_sub_f32_e32 v7, v19, v15
	v_sub_f32_e32 v4, v13, v17
	;; [unrolled: 1-line block ×3, first 2 shown]
	ds_write2_b64 v12, v[2:3], v[10:11] offset1:18
	ds_write2_b64 v12, v[8:9], v[0:1] offset0:36 offset1:54
	ds_write2_b64 v12, v[6:7], v[4:5] offset0:72 offset1:90
.LBB0_29:
	s_or_b32 exec_lo, exec_lo, s1
	v_mul_u32_u24_e32 v0, 15, v28
	s_waitcnt lgkmcnt(0)
	s_barrier
	buffer_gl0_inv
	v_add_nc_u32_e32 v29, 0x400, v42
	v_lshlrev_b32_e32 v24, 3, v0
	v_add_nc_u32_e32 v40, 0xc00, v42
	v_add_nc_u32_e32 v41, 0x1000, v42
	;; [unrolled: 1-line block ×4, first 2 shown]
	s_clause 0x7
	global_load_dwordx4 v[0:3], v24, s[12:13] offset:840
	global_load_dwordx4 v[4:7], v24, s[12:13] offset:856
	;; [unrolled: 1-line block ×7, first 2 shown]
	global_load_dwordx2 v[24:25], v24, s[12:13] offset:952
	ds_read2_b64 v[36:39], v42 offset1:108
	ds_read2_b64 v[43:46], v29 offset0:88 offset1:196
	ds_read2_b64 v[47:50], v40 offset0:48 offset1:156
	v_add_nc_u32_e32 v73, 0x2800, v42
	v_add_nc_u32_e32 v74, 0x2c00, v42
	ds_read2_b64 v[51:54], v41 offset0:136 offset1:244
	ds_read2_b64 v[55:58], v71 offset0:96 offset1:204
	;; [unrolled: 1-line block ×5, first 2 shown]
	s_waitcnt vmcnt(0) lgkmcnt(0)
	s_barrier
	buffer_gl0_inv
	v_mul_f32_e32 v75, v1, v39
	v_mul_f32_e32 v1, v1, v38
	;; [unrolled: 1-line block ×4, first 2 shown]
	v_fma_f32 v38, v0, v38, -v75
	v_fmac_f32_e32 v1, v0, v39
	v_fma_f32 v0, v2, v43, -v76
	v_fmac_f32_e32 v3, v2, v44
	v_mul_f32_e32 v2, v5, v46
	v_mul_f32_e32 v5, v5, v45
	;; [unrolled: 1-line block ×5, first 2 shown]
	v_fma_f32 v2, v4, v45, -v2
	v_fmac_f32_e32 v5, v4, v46
	v_mul_f32_e32 v4, v50, v9
	v_mul_f32_e32 v9, v49, v9
	v_mul_f32_e32 v11, v51, v11
	v_fma_f32 v39, v6, v47, -v39
	v_fmac_f32_e32 v7, v6, v48
	v_mul_f32_e32 v6, v54, v13
	v_mul_f32_e32 v13, v53, v13
	v_mul_f32_e32 v44, v56, v15
	v_mul_f32_e32 v15, v55, v15
	v_fma_f32 v4, v49, v8, -v4
	v_fmac_f32_e32 v9, v50, v8
	v_mul_f32_e32 v8, v58, v17
	;; [unrolled: 6-line block ×5, first 2 shown]
	v_mul_f32_e32 v25, v69, v25
	v_fma_f32 v8, v57, v16, -v8
	v_fmac_f32_e32 v17, v58, v16
	v_fma_f32 v16, v59, v18, -v45
	v_fmac_f32_e32 v19, v60, v18
	;; [unrolled: 2-line block ×7, first 2 shown]
	v_sub_f32_e32 v22, v36, v44
	v_sub_f32_e32 v15, v37, v15
	;; [unrolled: 1-line block ×16, first 2 shown]
	v_fma_f32 v33, v36, 2.0, -v22
	v_fma_f32 v34, v37, 2.0, -v15
	;; [unrolled: 1-line block ×16, first 2 shown]
	v_sub_f32_e32 v23, v22, v23
	v_add_f32_e32 v18, v15, v18
	v_sub_f32_e32 v24, v16, v24
	v_add_f32_e32 v20, v19, v20
	v_sub_f32_e32 v32, v8, v32
	v_add_f32_e32 v12, v17, v12
	v_sub_f32_e32 v25, v10, v25
	v_add_f32_e32 v14, v21, v14
	v_sub_f32_e32 v35, v33, v35
	v_sub_f32_e32 v7, v34, v7
	v_fma_f32 v22, v22, 2.0, -v23
	v_fma_f32 v15, v15, 2.0, -v18
	v_sub_f32_e32 v36, v0, v36
	v_sub_f32_e32 v11, v3, v11
	v_fma_f32 v16, v16, 2.0, -v24
	v_fma_f32 v19, v19, 2.0, -v20
	;; [unrolled: 4-line block ×4, first 2 shown]
	v_fmamk_f32 v38, v24, 0x3f3504f3, v23
	v_fmamk_f32 v39, v20, 0x3f3504f3, v18
	;; [unrolled: 1-line block ×4, first 2 shown]
	v_fma_f32 v33, v33, 2.0, -v35
	v_fma_f32 v34, v34, 2.0, -v7
	v_fma_f32 v0, v0, 2.0, -v36
	v_fma_f32 v3, v3, 2.0, -v11
	v_fma_f32 v37, v37, 2.0, -v4
	v_fma_f32 v45, v1, 2.0, -v9
	v_fma_f32 v1, v2, 2.0, -v6
	v_fma_f32 v2, v5, 2.0, -v13
	v_fmamk_f32 v46, v16, 0xbf3504f3, v22
	v_fmamk_f32 v47, v19, 0xbf3504f3, v15
	v_fmac_f32_e32 v38, 0xbf3504f3, v20
	v_fmac_f32_e32 v39, 0x3f3504f3, v24
	v_fmamk_f32 v20, v10, 0xbf3504f3, v8
	v_fmamk_f32 v24, v21, 0xbf3504f3, v17
	v_sub_f32_e32 v48, v35, v11
	v_add_f32_e32 v36, v7, v36
	v_sub_f32_e32 v13, v4, v13
	v_add_f32_e32 v49, v9, v6
	v_fmac_f32_e32 v43, 0xbf3504f3, v14
	v_fmac_f32_e32 v44, 0x3f3504f3, v25
	v_sub_f32_e32 v25, v33, v0
	v_sub_f32_e32 v50, v34, v3
	v_fmac_f32_e32 v46, 0xbf3504f3, v19
	v_fmac_f32_e32 v47, 0x3f3504f3, v16
	v_sub_f32_e32 v11, v37, v1
	v_sub_f32_e32 v14, v45, v2
	v_fmac_f32_e32 v20, 0xbf3504f3, v21
	v_fmac_f32_e32 v24, 0x3f3504f3, v10
	v_fma_f32 v35, v35, 2.0, -v48
	v_fma_f32 v51, v7, 2.0, -v36
	;; [unrolled: 1-line block ×8, first 2 shown]
	v_fmamk_f32 v0, v13, 0x3f3504f3, v48
	v_fmamk_f32 v1, v49, 0x3f3504f3, v36
	;; [unrolled: 1-line block ×4, first 2 shown]
	v_fma_f32 v32, v33, 2.0, -v25
	v_fma_f32 v33, v34, 2.0, -v50
	;; [unrolled: 1-line block ×8, first 2 shown]
	v_fmamk_f32 v4, v16, 0xbf3504f3, v35
	v_fmamk_f32 v5, v18, 0xbf3504f3, v51
	;; [unrolled: 1-line block ×4, first 2 shown]
	v_add_f32_e32 v9, v50, v11
	v_fmamk_f32 v10, v20, 0x3ec3ef15, v46
	v_fmamk_f32 v11, v24, 0x3ec3ef15, v47
	v_sub_f32_e32 v8, v25, v14
	v_fmac_f32_e32 v0, 0xbf3504f3, v49
	v_fmac_f32_e32 v1, 0x3f3504f3, v13
	;; [unrolled: 1-line block ×4, first 2 shown]
	v_sub_f32_e32 v13, v33, v15
	v_fmamk_f32 v14, v22, 0xbf6c835e, v34
	v_fmamk_f32 v15, v37, 0xbf6c835e, v53
	v_fmac_f32_e32 v4, 0xbf3504f3, v18
	v_fmac_f32_e32 v5, 0x3f3504f3, v16
	;; [unrolled: 1-line block ×6, first 2 shown]
	v_sub_f32_e32 v12, v32, v12
	v_fma_f32 v18, v48, 2.0, -v0
	v_fma_f32 v19, v36, 2.0, -v1
	v_fma_f32 v20, v38, 2.0, -v2
	v_fma_f32 v21, v39, 2.0, -v3
	v_fmac_f32_e32 v14, 0xbec3ef15, v37
	v_fmac_f32_e32 v15, 0x3ec3ef15, v22
	ds_write2_b64 v74, v[0:1], v[2:3] offset0:104 offset1:212
	v_fma_f32 v2, v35, 2.0, -v4
	v_fma_f32 v3, v51, 2.0, -v5
	;; [unrolled: 1-line block ×10, first 2 shown]
	ds_write2_b64 v41, v[18:19], v[20:21] offset0:136 offset1:244
	ds_write2_b64 v72, v[4:5], v[6:7] offset0:56 offset1:164
	v_fma_f32 v4, v34, 2.0, -v14
	v_fma_f32 v5, v53, 2.0, -v15
	ds_write2_b64 v73, v[8:9], v[10:11] offset0:16 offset1:124
	ds_write2_b64 v29, v[2:3], v[22:23] offset0:88 offset1:196
	;; [unrolled: 1-line block ×4, first 2 shown]
	ds_write2_b64 v42, v[0:1], v[4:5] offset1:108
	s_waitcnt lgkmcnt(0)
	s_barrier
	buffer_gl0_inv
	s_and_saveexec_b32 s0, vcc_lo
	s_cbranch_execz .LBB0_31
; %bb.30:
	v_mul_lo_u32 v0, s3, v30
	v_mul_lo_u32 v1, s2, v31
	v_mad_u64_u32 v[4:5], null, s2, v30, 0
	v_lshl_add_u32 v20, v28, 3, 0
	v_mov_b32_e32 v29, 0
	v_lshlrev_b64 v[8:9], 3, v[26:27]
	v_add_nc_u32_e32 v10, 0x6c, v28
	v_add_nc_u32_e32 v12, 0xd8, v28
	;; [unrolled: 1-line block ×3, first 2 shown]
	v_add3_u32 v5, v5, v1, v0
	ds_read2_b64 v[0:3], v20 offset1:108
	v_mov_b32_e32 v11, v29
	v_lshlrev_b64 v[14:15], 3, v[28:29]
	v_mov_b32_e32 v13, v29
	v_lshlrev_b64 v[4:5], 3, v[4:5]
	v_add_nc_u32_e32 v18, 0x2f4, v28
	v_mov_b32_e32 v19, v29
	v_lshlrev_b64 v[12:13], 3, v[12:13]
	v_add_co_u32 v16, vcc_lo, s10, v4
	v_add_co_ci_u32_e32 v17, vcc_lo, s11, v5, vcc_lo
	ds_read2_b64 v[4:7], v6 offset0:88 offset1:196
	v_add_co_u32 v21, vcc_lo, v16, v8
	v_add_co_ci_u32_e32 v22, vcc_lo, v17, v9, vcc_lo
	v_lshlrev_b64 v[8:9], 3, v[10:11]
	v_add_co_u32 v10, vcc_lo, v21, v14
	v_add_co_ci_u32_e32 v11, vcc_lo, v22, v15, vcc_lo
	v_add_nc_u32_e32 v14, 0x144, v28
	v_add_co_u32 v8, vcc_lo, v21, v8
	v_add_co_ci_u32_e32 v9, vcc_lo, v22, v9, vcc_lo
	v_add_co_u32 v12, vcc_lo, v21, v12
	v_mov_b32_e32 v15, v29
	v_add_co_ci_u32_e32 v13, vcc_lo, v22, v13, vcc_lo
	s_waitcnt lgkmcnt(1)
	global_store_dwordx2 v[10:11], v[0:1], off
	global_store_dwordx2 v[8:9], v[2:3], off
	s_waitcnt lgkmcnt(0)
	global_store_dwordx2 v[12:13], v[4:5], off
	v_lshlrev_b64 v[0:1], 3, v[14:15]
	v_add_nc_u32_e32 v2, 0xc00, v20
	v_add_nc_u32_e32 v8, 0x21c, v28
	v_mov_b32_e32 v9, v29
	v_add_nc_u32_e32 v10, 0x1000, v20
	v_add_nc_u32_e32 v4, 0x1b0, v28
	v_mov_b32_e32 v5, v29
	v_add_co_u32 v12, vcc_lo, v21, v0
	v_add_co_ci_u32_e32 v13, vcc_lo, v22, v1, vcc_lo
	ds_read2_b64 v[0:3], v2 offset0:48 offset1:156
	v_lshlrev_b64 v[14:15], 3, v[8:9]
	ds_read2_b64 v[8:11], v10 offset0:136 offset1:244
	v_lshlrev_b64 v[4:5], 3, v[4:5]
	v_add_nc_u32_e32 v16, 0x288, v28
	v_mov_b32_e32 v17, v29
	v_add_co_u32 v4, vcc_lo, v21, v4
	v_lshlrev_b64 v[16:17], 3, v[16:17]
	v_add_co_ci_u32_e32 v5, vcc_lo, v22, v5, vcc_lo
	v_add_co_u32 v14, vcc_lo, v21, v14
	v_add_co_ci_u32_e32 v15, vcc_lo, v22, v15, vcc_lo
	v_add_co_u32 v16, vcc_lo, v21, v16
	v_add_co_ci_u32_e32 v17, vcc_lo, v22, v17, vcc_lo
	global_store_dwordx2 v[12:13], v[6:7], off
	s_waitcnt lgkmcnt(1)
	global_store_dwordx2 v[4:5], v[0:1], off
	global_store_dwordx2 v[14:15], v[2:3], off
	s_waitcnt lgkmcnt(0)
	global_store_dwordx2 v[16:17], v[8:9], off
	v_lshlrev_b64 v[0:1], 3, v[18:19]
	v_add_nc_u32_e32 v2, 0x1800, v20
	v_add_nc_u32_e32 v4, 0x360, v28
	v_mov_b32_e32 v5, v29
	v_add_nc_u32_e32 v6, 0x3cc, v28
	v_mov_b32_e32 v7, v29
	v_add_nc_u32_e32 v17, 0x2000, v20
	v_add_co_u32 v8, vcc_lo, v21, v0
	v_add_co_ci_u32_e32 v9, vcc_lo, v22, v1, vcc_lo
	ds_read2_b64 v[0:3], v2 offset0:96 offset1:204
	v_lshlrev_b64 v[12:13], 3, v[4:5]
	v_lshlrev_b64 v[14:15], 3, v[6:7]
	ds_read2_b64 v[4:7], v17 offset0:56 offset1:164
	v_add_nc_u32_e32 v16, 0x438, v28
	v_mov_b32_e32 v17, v29
	v_add_nc_u32_e32 v18, 0x4a4, v28
	v_add_co_u32 v12, vcc_lo, v21, v12
	v_add_co_ci_u32_e32 v13, vcc_lo, v22, v13, vcc_lo
	v_lshlrev_b64 v[16:17], 3, v[16:17]
	v_add_co_u32 v14, vcc_lo, v21, v14
	v_add_co_ci_u32_e32 v15, vcc_lo, v22, v15, vcc_lo
	v_add_co_u32 v16, vcc_lo, v21, v16
	v_add_co_ci_u32_e32 v17, vcc_lo, v22, v17, vcc_lo
	global_store_dwordx2 v[8:9], v[10:11], off
	s_waitcnt lgkmcnt(1)
	global_store_dwordx2 v[12:13], v[0:1], off
	global_store_dwordx2 v[14:15], v[2:3], off
	s_waitcnt lgkmcnt(0)
	global_store_dwordx2 v[16:17], v[4:5], off
	v_lshlrev_b64 v[0:1], 3, v[18:19]
	v_add_nc_u32_e32 v2, 0x2800, v20
	v_add_nc_u32_e32 v4, 0x510, v28
	v_mov_b32_e32 v5, v29
	v_add_nc_u32_e32 v8, 0x57c, v28
	v_mov_b32_e32 v9, v29
	v_add_nc_u32_e32 v10, 0x2c00, v20
	v_add_co_u32 v12, vcc_lo, v21, v0
	v_add_co_ci_u32_e32 v13, vcc_lo, v22, v1, vcc_lo
	ds_read2_b64 v[0:3], v2 offset0:16 offset1:124
	v_lshlrev_b64 v[4:5], 3, v[4:5]
	v_lshlrev_b64 v[14:15], 3, v[8:9]
	v_add_nc_u32_e32 v16, 0x5e8, v28
	v_mov_b32_e32 v17, v29
	ds_read2_b64 v[8:11], v10 offset0:104 offset1:212
	v_add_nc_u32_e32 v28, 0x654, v28
	v_add_co_u32 v4, vcc_lo, v21, v4
	v_lshlrev_b64 v[16:17], 3, v[16:17]
	v_add_co_ci_u32_e32 v5, vcc_lo, v22, v5, vcc_lo
	v_add_co_u32 v14, vcc_lo, v21, v14
	v_lshlrev_b64 v[18:19], 3, v[28:29]
	v_add_co_ci_u32_e32 v15, vcc_lo, v22, v15, vcc_lo
	v_add_co_u32 v16, vcc_lo, v21, v16
	v_add_co_ci_u32_e32 v17, vcc_lo, v22, v17, vcc_lo
	v_add_co_u32 v18, vcc_lo, v21, v18
	v_add_co_ci_u32_e32 v19, vcc_lo, v22, v19, vcc_lo
	global_store_dwordx2 v[12:13], v[6:7], off
	s_waitcnt lgkmcnt(1)
	global_store_dwordx2 v[4:5], v[0:1], off
	global_store_dwordx2 v[14:15], v[2:3], off
	s_waitcnt lgkmcnt(0)
	global_store_dwordx2 v[16:17], v[8:9], off
	global_store_dwordx2 v[18:19], v[10:11], off
.LBB0_31:
	s_endpgm
	.section	.rodata,"a",@progbits
	.p2align	6, 0x0
	.amdhsa_kernel fft_rtc_fwd_len1728_factors_3_6_6_16_wgs_108_tpt_108_halfLds_sp_op_CI_CI_unitstride_sbrr_C2R_dirReg
		.amdhsa_group_segment_fixed_size 0
		.amdhsa_private_segment_fixed_size 0
		.amdhsa_kernarg_size 104
		.amdhsa_user_sgpr_count 6
		.amdhsa_user_sgpr_private_segment_buffer 1
		.amdhsa_user_sgpr_dispatch_ptr 0
		.amdhsa_user_sgpr_queue_ptr 0
		.amdhsa_user_sgpr_kernarg_segment_ptr 1
		.amdhsa_user_sgpr_dispatch_id 0
		.amdhsa_user_sgpr_flat_scratch_init 0
		.amdhsa_user_sgpr_private_segment_size 0
		.amdhsa_wavefront_size32 1
		.amdhsa_uses_dynamic_stack 0
		.amdhsa_system_sgpr_private_segment_wavefront_offset 0
		.amdhsa_system_sgpr_workgroup_id_x 1
		.amdhsa_system_sgpr_workgroup_id_y 0
		.amdhsa_system_sgpr_workgroup_id_z 0
		.amdhsa_system_sgpr_workgroup_info 0
		.amdhsa_system_vgpr_workitem_id 0
		.amdhsa_next_free_vgpr 80
		.amdhsa_next_free_sgpr 27
		.amdhsa_reserve_vcc 1
		.amdhsa_reserve_flat_scratch 0
		.amdhsa_float_round_mode_32 0
		.amdhsa_float_round_mode_16_64 0
		.amdhsa_float_denorm_mode_32 3
		.amdhsa_float_denorm_mode_16_64 3
		.amdhsa_dx10_clamp 1
		.amdhsa_ieee_mode 1
		.amdhsa_fp16_overflow 0
		.amdhsa_workgroup_processor_mode 1
		.amdhsa_memory_ordered 1
		.amdhsa_forward_progress 0
		.amdhsa_shared_vgpr_count 0
		.amdhsa_exception_fp_ieee_invalid_op 0
		.amdhsa_exception_fp_denorm_src 0
		.amdhsa_exception_fp_ieee_div_zero 0
		.amdhsa_exception_fp_ieee_overflow 0
		.amdhsa_exception_fp_ieee_underflow 0
		.amdhsa_exception_fp_ieee_inexact 0
		.amdhsa_exception_int_div_zero 0
	.end_amdhsa_kernel
	.text
.Lfunc_end0:
	.size	fft_rtc_fwd_len1728_factors_3_6_6_16_wgs_108_tpt_108_halfLds_sp_op_CI_CI_unitstride_sbrr_C2R_dirReg, .Lfunc_end0-fft_rtc_fwd_len1728_factors_3_6_6_16_wgs_108_tpt_108_halfLds_sp_op_CI_CI_unitstride_sbrr_C2R_dirReg
                                        ; -- End function
	.section	.AMDGPU.csdata,"",@progbits
; Kernel info:
; codeLenInByte = 9616
; NumSgprs: 29
; NumVgprs: 80
; ScratchSize: 0
; MemoryBound: 0
; FloatMode: 240
; IeeeMode: 1
; LDSByteSize: 0 bytes/workgroup (compile time only)
; SGPRBlocks: 3
; VGPRBlocks: 9
; NumSGPRsForWavesPerEU: 29
; NumVGPRsForWavesPerEU: 80
; Occupancy: 12
; WaveLimiterHint : 1
; COMPUTE_PGM_RSRC2:SCRATCH_EN: 0
; COMPUTE_PGM_RSRC2:USER_SGPR: 6
; COMPUTE_PGM_RSRC2:TRAP_HANDLER: 0
; COMPUTE_PGM_RSRC2:TGID_X_EN: 1
; COMPUTE_PGM_RSRC2:TGID_Y_EN: 0
; COMPUTE_PGM_RSRC2:TGID_Z_EN: 0
; COMPUTE_PGM_RSRC2:TIDIG_COMP_CNT: 0
	.text
	.p2alignl 6, 3214868480
	.fill 48, 4, 3214868480
	.type	__hip_cuid_c0cd46da43a70f2c,@object ; @__hip_cuid_c0cd46da43a70f2c
	.section	.bss,"aw",@nobits
	.globl	__hip_cuid_c0cd46da43a70f2c
__hip_cuid_c0cd46da43a70f2c:
	.byte	0                               ; 0x0
	.size	__hip_cuid_c0cd46da43a70f2c, 1

	.ident	"AMD clang version 19.0.0git (https://github.com/RadeonOpenCompute/llvm-project roc-6.4.0 25133 c7fe45cf4b819c5991fe208aaa96edf142730f1d)"
	.section	".note.GNU-stack","",@progbits
	.addrsig
	.addrsig_sym __hip_cuid_c0cd46da43a70f2c
	.amdgpu_metadata
---
amdhsa.kernels:
  - .args:
      - .actual_access:  read_only
        .address_space:  global
        .offset:         0
        .size:           8
        .value_kind:     global_buffer
      - .offset:         8
        .size:           8
        .value_kind:     by_value
      - .actual_access:  read_only
        .address_space:  global
        .offset:         16
        .size:           8
        .value_kind:     global_buffer
      - .actual_access:  read_only
        .address_space:  global
        .offset:         24
        .size:           8
        .value_kind:     global_buffer
      - .actual_access:  read_only
        .address_space:  global
        .offset:         32
        .size:           8
        .value_kind:     global_buffer
      - .offset:         40
        .size:           8
        .value_kind:     by_value
      - .actual_access:  read_only
        .address_space:  global
        .offset:         48
        .size:           8
        .value_kind:     global_buffer
      - .actual_access:  read_only
        .address_space:  global
        .offset:         56
        .size:           8
        .value_kind:     global_buffer
      - .offset:         64
        .size:           4
        .value_kind:     by_value
      - .actual_access:  read_only
        .address_space:  global
        .offset:         72
        .size:           8
        .value_kind:     global_buffer
      - .actual_access:  read_only
        .address_space:  global
        .offset:         80
        .size:           8
        .value_kind:     global_buffer
      - .actual_access:  read_only
        .address_space:  global
        .offset:         88
        .size:           8
        .value_kind:     global_buffer
      - .actual_access:  write_only
        .address_space:  global
        .offset:         96
        .size:           8
        .value_kind:     global_buffer
    .group_segment_fixed_size: 0
    .kernarg_segment_align: 8
    .kernarg_segment_size: 104
    .language:       OpenCL C
    .language_version:
      - 2
      - 0
    .max_flat_workgroup_size: 108
    .name:           fft_rtc_fwd_len1728_factors_3_6_6_16_wgs_108_tpt_108_halfLds_sp_op_CI_CI_unitstride_sbrr_C2R_dirReg
    .private_segment_fixed_size: 0
    .sgpr_count:     29
    .sgpr_spill_count: 0
    .symbol:         fft_rtc_fwd_len1728_factors_3_6_6_16_wgs_108_tpt_108_halfLds_sp_op_CI_CI_unitstride_sbrr_C2R_dirReg.kd
    .uniform_work_group_size: 1
    .uses_dynamic_stack: false
    .vgpr_count:     80
    .vgpr_spill_count: 0
    .wavefront_size: 32
    .workgroup_processor_mode: 1
amdhsa.target:   amdgcn-amd-amdhsa--gfx1030
amdhsa.version:
  - 1
  - 2
...

	.end_amdgpu_metadata
